;; amdgpu-corpus repo=FlagOpen/FlagGems kind=triton arch=gfx950 opt=O3 lang=triton
	.amdgcn_target "amdgcn-amd-amdhsa--gfx950"
	.amdhsa_code_object_version 5
	.text
	.globl	index_select_kernel             ; -- Begin function index_select_kernel
	.p2align	8
	.type	index_select_kernel,@function
index_select_kernel:                    ; @index_select_kernel
.Lfunc_begin0:
	.cfi_sections .debug_frame
	.cfi_startproc
; %bb.35:
	.file	1 "/root/src/amdgpu-assembly/repos/FlagOpen__FlagGems/triton_aot_kernels" "index_select_aot.py"
	.loc	1 8 0 prologue_end              ; index_select_aot.py:8:0
	s_load_dwordx2 s[2:3], s[0:1], 0x0
	s_load_dwordx8 s[4:11], s[0:1], 0x8
	s_load_dwordx4 s[12:15], s[0:1], 0x28
	s_waitcnt lgkmcnt(0)
	s_branch .LBB0_0
	.loc	1 0 0 is_stmt 0                 ; :0:0
.Ltmp0:
	.p2align	8
; %bb.36:
.LBB0_0:
.Ltmp1:
	.loc	1 15 50 is_stmt 1               ; index_select_aot.py:15:50
	v_readfirstlane_b32 s0, v0
	.loc	1 29 28                         ; index_select_aot.py:29:28
	s_and_b32 s0, s0, 0xc0
	s_mov_b32 s12, s7
	.loc	1 15 50                         ; index_select_aot.py:15:50
	v_and_or_b32 v0, v0, 63, s0
	.loc	1 15 37 is_stmt 0               ; index_select_aot.py:15:37
	v_lshl_or_b32 v0, s17, 8, v0
	.loc	1 17 45 is_stmt 1               ; index_select_aot.py:17:45
	v_cmp_gt_i32_e32 vcc, s10, v0
	.loc	1 19 22                         ; index_select_aot.py:19:22
	v_mov_b64_e32 v[2:3], 0
	s_and_saveexec_b64 s[0:1], vcc
	s_cbranch_execz .LBB0_2
; %bb.1:
	.loc	1 0 22 is_stmt 0                ; index_select_aot.py:0:22
	v_ashrrev_i32_e32 v1, 31, v0
	v_lshl_add_u64 v[2:3], v[0:1], 3, s[8:9]
	.loc	1 19 22                         ; index_select_aot.py:19:22
	global_load_dwordx2 v[2:3], v[2:3], off
.LBB0_2:
	.loc	1 0 22                          ; index_select_aot.py:0:22
	s_or_b64 exec, exec, s[0:1]
	.loc	1 13 27 is_stmt 1               ; index_select_aot.py:13:27
	s_lshl_b32 s11, s16, 3
	.loc	1 14 31                         ; index_select_aot.py:14:31
	s_cmp_lt_i32 s11, s6
	s_cselect_b64 s[0:1], -1, 0
	.loc	1 21 34                         ; index_select_aot.py:21:34
	s_ashr_i32 s13, s12, 31
	.loc	1 17 30                         ; index_select_aot.py:17:30
	s_and_b64 s[16:17], s[0:1], vcc
	.loc	1 20 35                         ; index_select_aot.py:20:35
	s_waitcnt vmcnt(0)
	v_cmp_lt_i64_e64 s[0:1], -1, v[2:3]
	.loc	1 21 34                         ; index_select_aot.py:21:34
	v_cmp_gt_i64_e64 s[8:9], s[12:13], v[2:3]
	.loc	1 22 43                         ; index_select_aot.py:22:43
	s_and_b64 s[14:15], s[0:1], s[8:9]
	.loc	1 27 28                         ; index_select_aot.py:27:28
	s_and_b64 s[0:1], s[16:17], s[14:15]
	.loc	1 28 29                         ; index_select_aot.py:28:29
	v_lshl_add_u64 v[2:3], v[2:3], 2, s[2:3]
	v_mov_b32_e32 v4, 0
	v_mov_b32_e32 v5, 0
	.loc	1 28 23 is_stmt 0               ; index_select_aot.py:28:23
	s_and_saveexec_b64 s[2:3], s[0:1]
	s_cbranch_execz .LBB0_4
; %bb.3:
	.loc	1 0 23                          ; index_select_aot.py:0:23
	s_mul_i32 s8, s12, s11
	s_ashr_i32 s9, s8, 31
	v_lshl_add_u64 v[6:7], s[8:9], 2, v[2:3]
	.loc	1 28 23                         ; index_select_aot.py:28:23
	global_load_dword v5, v[6:7], off
.LBB0_4:
	.loc	1 0 23                          ; index_select_aot.py:0:23
	s_or_b64 exec, exec, s[2:3]
	.loc	1 13 37 is_stmt 1               ; index_select_aot.py:13:37
	s_or_b32 s7, s11, 1
	.loc	1 14 31                         ; index_select_aot.py:14:31
	s_cmp_lt_i32 s7, s6
	s_cselect_b64 s[2:3], -1, 0
	.loc	1 17 30                         ; index_select_aot.py:17:30
	s_and_b64 s[2:3], s[2:3], vcc
	.loc	1 27 28                         ; index_select_aot.py:27:28
	s_and_b64 s[2:3], s[2:3], s[14:15]
	.loc	1 28 23                         ; index_select_aot.py:28:23
	s_and_saveexec_b64 s[8:9], s[2:3]
	s_cbranch_execz .LBB0_6
; %bb.5:
	.loc	1 24 29                         ; index_select_aot.py:24:29
	s_mul_i32 s16, s12, s7
	.loc	1 24 33 is_stmt 0               ; index_select_aot.py:24:33
	s_ashr_i32 s17, s16, 31
	.loc	1 28 29 is_stmt 1               ; index_select_aot.py:28:29
	v_lshl_add_u64 v[6:7], s[16:17], 2, v[2:3]
	.loc	1 28 23 is_stmt 0               ; index_select_aot.py:28:23
	global_load_dword v4, v[6:7], off
.LBB0_6:
	.loc	1 0 23                          ; index_select_aot.py:0:23
	s_or_b64 exec, exec, s[8:9]
	.loc	1 13 37 is_stmt 1               ; index_select_aot.py:13:37
	s_or_b32 s7, s11, 2
	.loc	1 14 31                         ; index_select_aot.py:14:31
	s_cmp_lt_i32 s7, s6
	s_cselect_b64 s[8:9], -1, 0
	.loc	1 17 30                         ; index_select_aot.py:17:30
	s_and_b64 s[8:9], s[8:9], vcc
	.loc	1 27 28                         ; index_select_aot.py:27:28
	s_and_b64 s[8:9], s[8:9], s[14:15]
	v_mov_b32_e32 v6, 0
	v_mov_b32_e32 v7, 0
	.loc	1 28 23                         ; index_select_aot.py:28:23
	s_and_saveexec_b64 s[16:17], s[8:9]
	s_cbranch_execz .LBB0_8
; %bb.7:
	.loc	1 24 29                         ; index_select_aot.py:24:29
	s_mul_i32 s18, s12, s7
	.loc	1 24 33 is_stmt 0               ; index_select_aot.py:24:33
	s_ashr_i32 s19, s18, 31
	.loc	1 28 29 is_stmt 1               ; index_select_aot.py:28:29
	v_lshl_add_u64 v[8:9], s[18:19], 2, v[2:3]
	.loc	1 28 23 is_stmt 0               ; index_select_aot.py:28:23
	global_load_dword v7, v[8:9], off
.LBB0_8:
	.loc	1 0 23                          ; index_select_aot.py:0:23
	s_or_b64 exec, exec, s[16:17]
	.loc	1 13 37 is_stmt 1               ; index_select_aot.py:13:37
	s_or_b32 s7, s11, 3
	.loc	1 14 31                         ; index_select_aot.py:14:31
	s_cmp_lt_i32 s7, s6
	s_cselect_b64 s[16:17], -1, 0
	.loc	1 17 30                         ; index_select_aot.py:17:30
	s_and_b64 s[16:17], s[16:17], vcc
	.loc	1 27 28                         ; index_select_aot.py:27:28
	s_and_b64 s[16:17], s[16:17], s[14:15]
	.loc	1 28 23                         ; index_select_aot.py:28:23
	s_and_saveexec_b64 s[18:19], s[16:17]
	s_cbranch_execz .LBB0_10
; %bb.9:
	.loc	1 24 29                         ; index_select_aot.py:24:29
	s_mul_i32 s20, s12, s7
	.loc	1 24 33 is_stmt 0               ; index_select_aot.py:24:33
	s_ashr_i32 s21, s20, 31
	.loc	1 28 29 is_stmt 1               ; index_select_aot.py:28:29
	v_lshl_add_u64 v[8:9], s[20:21], 2, v[2:3]
	.loc	1 28 23 is_stmt 0               ; index_select_aot.py:28:23
	global_load_dword v6, v[8:9], off
.LBB0_10:
	.loc	1 0 23                          ; index_select_aot.py:0:23
	s_or_b64 exec, exec, s[18:19]
	.loc	1 13 37 is_stmt 1               ; index_select_aot.py:13:37
	s_or_b32 s7, s11, 4
	.loc	1 14 31                         ; index_select_aot.py:14:31
	s_cmp_lt_i32 s7, s6
	s_cselect_b64 s[18:19], -1, 0
	.loc	1 17 30                         ; index_select_aot.py:17:30
	s_and_b64 s[18:19], s[18:19], vcc
	.loc	1 27 28                         ; index_select_aot.py:27:28
	s_and_b64 s[18:19], s[18:19], s[14:15]
	v_mov_b32_e32 v8, 0
	v_mov_b32_e32 v10, 0
	.loc	1 28 23                         ; index_select_aot.py:28:23
	s_and_saveexec_b64 s[20:21], s[18:19]
	s_cbranch_execz .LBB0_12
; %bb.11:
	.loc	1 24 29                         ; index_select_aot.py:24:29
	s_mul_i32 s22, s12, s7
	.loc	1 24 33 is_stmt 0               ; index_select_aot.py:24:33
	s_ashr_i32 s23, s22, 31
	.loc	1 28 29 is_stmt 1               ; index_select_aot.py:28:29
	v_lshl_add_u64 v[10:11], s[22:23], 2, v[2:3]
	.loc	1 28 23 is_stmt 0               ; index_select_aot.py:28:23
	global_load_dword v10, v[10:11], off
.LBB0_12:
	;; [unrolled: 50-line block ×3, first 2 shown]
	.loc	1 0 23                          ; index_select_aot.py:0:23
	s_or_b64 exec, exec, s[24:25]
	.loc	1 13 37 is_stmt 1               ; index_select_aot.py:13:37
	s_or_b32 s13, s11, 7
	.loc	1 14 31                         ; index_select_aot.py:14:31
	s_cmp_lt_i32 s13, s6
	s_cselect_b64 s[6:7], -1, 0
	.loc	1 17 30                         ; index_select_aot.py:17:30
	s_and_b64 s[6:7], s[6:7], vcc
	.loc	1 27 28                         ; index_select_aot.py:27:28
	s_and_b64 s[6:7], s[6:7], s[14:15]
	.loc	1 28 23                         ; index_select_aot.py:28:23
	s_and_saveexec_b64 s[14:15], s[6:7]
	s_cbranch_execz .LBB0_18
; %bb.17:
	.loc	1 24 29                         ; index_select_aot.py:24:29
	s_mul_i32 s12, s12, s13
	.loc	1 24 33 is_stmt 0               ; index_select_aot.py:24:33
	s_ashr_i32 s13, s12, 31
	.loc	1 28 29 is_stmt 1               ; index_select_aot.py:28:29
	v_lshl_add_u64 v[2:3], s[12:13], 2, v[2:3]
	.loc	1 28 23 is_stmt 0               ; index_select_aot.py:28:23
	global_load_dword v9, v[2:3], off
.LBB0_18:
	.loc	1 0 23                          ; index_select_aot.py:0:23
	s_or_b64 exec, exec, s[14:15]
	.loc	1 25 29 is_stmt 1               ; index_select_aot.py:25:29
	s_mul_i32 s11, s10, s11
	.loc	1 25 41 is_stmt 0               ; index_select_aot.py:25:41
	v_add_u32_e32 v0, s11, v0
	.loc	1 29 28 is_stmt 1               ; index_select_aot.py:29:28
	s_and_saveexec_b64 s[12:13], s[0:1]
	s_cbranch_execnz .LBB0_27
; %bb.19:
	.loc	1 0 28 is_stmt 0                ; index_select_aot.py:0:28
	s_or_b64 exec, exec, s[12:13]
	.loc	1 29 28                         ; index_select_aot.py:29:28
	s_and_saveexec_b64 s[0:1], s[2:3]
	s_cbranch_execnz .LBB0_28
.LBB0_20:
	.loc	1 0 28                          ; index_select_aot.py:0:28
	s_or_b64 exec, exec, s[0:1]
	.loc	1 29 28                         ; index_select_aot.py:29:28
	s_and_saveexec_b64 s[0:1], s[8:9]
	s_cbranch_execnz .LBB0_29
.LBB0_21:
	.loc	1 0 28                          ; index_select_aot.py:0:28
	s_or_b64 exec, exec, s[0:1]
	.loc	1 29 28                         ; index_select_aot.py:29:28
	s_and_saveexec_b64 s[0:1], s[16:17]
	s_cbranch_execnz .LBB0_30
.LBB0_22:
	.loc	1 0 28                          ; index_select_aot.py:0:28
	s_or_b64 exec, exec, s[0:1]
	.loc	1 29 28                         ; index_select_aot.py:29:28
	s_and_saveexec_b64 s[0:1], s[18:19]
	s_cbranch_execnz .LBB0_31
.LBB0_23:
	.loc	1 0 28                          ; index_select_aot.py:0:28
	s_or_b64 exec, exec, s[0:1]
	.loc	1 29 28                         ; index_select_aot.py:29:28
	s_and_saveexec_b64 s[0:1], s[20:21]
	s_cbranch_execnz .LBB0_32
.LBB0_24:
	.loc	1 0 28                          ; index_select_aot.py:0:28
	s_or_b64 exec, exec, s[0:1]
	.loc	1 29 28                         ; index_select_aot.py:29:28
	s_and_saveexec_b64 s[0:1], s[22:23]
	s_cbranch_execnz .LBB0_33
.LBB0_25:
	.loc	1 0 28                          ; index_select_aot.py:0:28
	s_or_b64 exec, exec, s[0:1]
	.loc	1 29 28                         ; index_select_aot.py:29:28
	s_and_saveexec_b64 s[0:1], s[6:7]
	s_cbranch_execnz .LBB0_34
.LBB0_26:
	.loc	1 29 4                          ; index_select_aot.py:29:4
	s_endpgm
.LBB0_27:
	.loc	1 0 4                           ; index_select_aot.py:0:4
	v_ashrrev_i32_e32 v1, 31, v0
	v_lshl_add_u64 v[2:3], v[0:1], 2, s[4:5]
	.loc	1 29 28                         ; index_select_aot.py:29:28
	s_waitcnt vmcnt(0)
	global_store_dword v[2:3], v5, off
	s_or_b64 exec, exec, s[12:13]
	s_and_saveexec_b64 s[0:1], s[2:3]
	s_cbranch_execz .LBB0_20
.LBB0_28:
	.loc	1 25 41 is_stmt 1               ; index_select_aot.py:25:41
	v_add_u32_e32 v2, s10, v0
	.loc	1 29 19                         ; index_select_aot.py:29:19
	v_ashrrev_i32_e32 v3, 31, v2
	v_lshl_add_u64 v[2:3], v[2:3], 2, s[4:5]
	.loc	1 29 28 is_stmt 0               ; index_select_aot.py:29:28
	s_waitcnt vmcnt(0)
	global_store_dword v[2:3], v4, off
	s_or_b64 exec, exec, s[0:1]
	s_and_saveexec_b64 s[0:1], s[8:9]
	s_cbranch_execz .LBB0_21
.LBB0_29:
	.loc	1 25 41 is_stmt 1               ; index_select_aot.py:25:41
	v_lshl_add_u32 v2, s10, 1, v0
	.loc	1 29 19                         ; index_select_aot.py:29:19
	v_ashrrev_i32_e32 v3, 31, v2
	v_lshl_add_u64 v[2:3], v[2:3], 2, s[4:5]
	.loc	1 29 28 is_stmt 0               ; index_select_aot.py:29:28
	s_waitcnt vmcnt(0)
	global_store_dword v[2:3], v7, off
	s_or_b64 exec, exec, s[0:1]
	s_and_saveexec_b64 s[0:1], s[16:17]
	s_cbranch_execz .LBB0_22
.LBB0_30:
	.loc	1 25 41 is_stmt 1               ; index_select_aot.py:25:41
	v_mad_u64_u32 v[2:3], s[2:3], s10, 3, v[0:1]
	.loc	1 29 19                         ; index_select_aot.py:29:19
	v_ashrrev_i32_e32 v3, 31, v2
	v_lshl_add_u64 v[2:3], v[2:3], 2, s[4:5]
	.loc	1 29 28 is_stmt 0               ; index_select_aot.py:29:28
	s_waitcnt vmcnt(0)
	global_store_dword v[2:3], v6, off
	s_or_b64 exec, exec, s[0:1]
	s_and_saveexec_b64 s[0:1], s[18:19]
	s_cbranch_execz .LBB0_23
.LBB0_31:
	.loc	1 25 41 is_stmt 1               ; index_select_aot.py:25:41
	v_lshl_add_u32 v2, s10, 2, v0
	.loc	1 29 19                         ; index_select_aot.py:29:19
	v_ashrrev_i32_e32 v3, 31, v2
	v_lshl_add_u64 v[2:3], v[2:3], 2, s[4:5]
	.loc	1 29 28 is_stmt 0               ; index_select_aot.py:29:28
	s_waitcnt vmcnt(0)
	global_store_dword v[2:3], v10, off
	s_or_b64 exec, exec, s[0:1]
	s_and_saveexec_b64 s[0:1], s[20:21]
	s_cbranch_execz .LBB0_24
.LBB0_32:
	.loc	1 25 41 is_stmt 1               ; index_select_aot.py:25:41
	v_mad_u64_u32 v[2:3], s[2:3], s10, 5, v[0:1]
	.loc	1 29 19                         ; index_select_aot.py:29:19
	v_ashrrev_i32_e32 v3, 31, v2
	v_lshl_add_u64 v[2:3], v[2:3], 2, s[4:5]
	.loc	1 29 28 is_stmt 0               ; index_select_aot.py:29:28
	s_waitcnt vmcnt(0)
	global_store_dword v[2:3], v8, off
	s_or_b64 exec, exec, s[0:1]
	s_and_saveexec_b64 s[0:1], s[22:23]
	s_cbranch_execz .LBB0_25
.LBB0_33:
	.loc	1 25 41 is_stmt 1               ; index_select_aot.py:25:41
	v_mad_u64_u32 v[2:3], s[2:3], s10, 6, v[0:1]
	.loc	1 29 19                         ; index_select_aot.py:29:19
	v_ashrrev_i32_e32 v3, 31, v2
	v_lshl_add_u64 v[2:3], v[2:3], 2, s[4:5]
	.loc	1 29 28 is_stmt 0               ; index_select_aot.py:29:28
	s_waitcnt vmcnt(0)
	global_store_dword v[2:3], v11, off
	s_or_b64 exec, exec, s[0:1]
	s_and_saveexec_b64 s[0:1], s[6:7]
	s_cbranch_execz .LBB0_26
.LBB0_34:
	.loc	1 25 41 is_stmt 1               ; index_select_aot.py:25:41
	v_mad_u64_u32 v[0:1], s[0:1], s10, 7, v[0:1]
	.loc	1 29 19                         ; index_select_aot.py:29:19
	v_ashrrev_i32_e32 v1, 31, v0
	v_lshl_add_u64 v[0:1], v[0:1], 2, s[4:5]
	.loc	1 29 28 is_stmt 0               ; index_select_aot.py:29:28
	s_waitcnt vmcnt(0)
	global_store_dword v[0:1], v9, off
	.loc	1 29 4                          ; index_select_aot.py:29:4
	s_endpgm
.Ltmp2:
	.section	.rodata,"a",@progbits
	.p2align	6, 0x0
	.amdhsa_kernel index_select_kernel
		.amdhsa_group_segment_fixed_size 0
		.amdhsa_private_segment_fixed_size 0
		.amdhsa_kernarg_size 56
		.amdhsa_user_sgpr_count 16
		.amdhsa_user_sgpr_dispatch_ptr 0
		.amdhsa_user_sgpr_queue_ptr 0
		.amdhsa_user_sgpr_kernarg_segment_ptr 1
		.amdhsa_user_sgpr_dispatch_id 0
		.amdhsa_user_sgpr_kernarg_preload_length 14
		.amdhsa_user_sgpr_kernarg_preload_offset 0
		.amdhsa_user_sgpr_private_segment_size 0
		.amdhsa_uses_dynamic_stack 0
		.amdhsa_enable_private_segment 0
		.amdhsa_system_sgpr_workgroup_id_x 1
		.amdhsa_system_sgpr_workgroup_id_y 1
		.amdhsa_system_sgpr_workgroup_id_z 0
		.amdhsa_system_sgpr_workgroup_info 0
		.amdhsa_system_vgpr_workitem_id 0
		.amdhsa_next_free_vgpr 14
		.amdhsa_next_free_sgpr 28
		.amdhsa_accum_offset 16
		.amdhsa_reserve_vcc 1
		.amdhsa_reserve_xnack_mask 1
		.amdhsa_float_round_mode_32 0
		.amdhsa_float_round_mode_16_64 0
		.amdhsa_float_denorm_mode_32 3
		.amdhsa_float_denorm_mode_16_64 3
		.amdhsa_dx10_clamp 1
		.amdhsa_ieee_mode 1
		.amdhsa_fp16_overflow 0
		.amdhsa_tg_split 0
		.amdhsa_exception_fp_ieee_invalid_op 0
		.amdhsa_exception_fp_denorm_src 0
		.amdhsa_exception_fp_ieee_div_zero 0
		.amdhsa_exception_fp_ieee_overflow 0
		.amdhsa_exception_fp_ieee_underflow 0
		.amdhsa_exception_fp_ieee_inexact 0
		.amdhsa_exception_int_div_zero 0
	.end_amdhsa_kernel
	.text
.Lfunc_end0:
	.size	index_select_kernel, .Lfunc_end0-index_select_kernel
	.cfi_endproc
                                        ; -- End function
	.set index_select_kernel.num_vgpr, 14
	.set index_select_kernel.num_agpr, 0
	.set index_select_kernel.numbered_sgpr, 28
	.set index_select_kernel.num_named_barrier, 0
	.set index_select_kernel.private_seg_size, 0
	.set index_select_kernel.uses_vcc, 1
	.set index_select_kernel.uses_flat_scratch, 0
	.set index_select_kernel.has_dyn_sized_stack, 0
	.set index_select_kernel.has_recursion, 0
	.set index_select_kernel.has_indirect_call, 0
	.section	.AMDGPU.csdata,"",@progbits
; Kernel info:
; codeLenInByte = 1280
; TotalNumSgprs: 34
; NumVgprs: 14
; NumAgprs: 0
; TotalNumVgprs: 14
; ScratchSize: 0
; MemoryBound: 0
; FloatMode: 240
; IeeeMode: 1
; LDSByteSize: 0 bytes/workgroup (compile time only)
; SGPRBlocks: 4
; VGPRBlocks: 1
; NumSGPRsForWavesPerEU: 34
; NumVGPRsForWavesPerEU: 14
; AccumOffset: 16
; Occupancy: 8
; WaveLimiterHint : 0
; COMPUTE_PGM_RSRC2:SCRATCH_EN: 0
; COMPUTE_PGM_RSRC2:USER_SGPR: 16
; COMPUTE_PGM_RSRC2:TRAP_HANDLER: 0
; COMPUTE_PGM_RSRC2:TGID_X_EN: 1
; COMPUTE_PGM_RSRC2:TGID_Y_EN: 1
; COMPUTE_PGM_RSRC2:TGID_Z_EN: 0
; COMPUTE_PGM_RSRC2:TIDIG_COMP_CNT: 0
; COMPUTE_PGM_RSRC3_GFX90A:ACCUM_OFFSET: 3
; COMPUTE_PGM_RSRC3_GFX90A:TG_SPLIT: 0
	.text
	.p2alignl 6, 3212836864
	.fill 256, 4, 3212836864
	.section	.AMDGPU.gpr_maximums,"",@progbits
	.set amdgpu.max_num_vgpr, 0
	.set amdgpu.max_num_agpr, 0
	.set amdgpu.max_num_sgpr, 0
	.set amdgpu.max_num_named_barrier, 0
	.text
	.section	.debug_abbrev,"",@progbits
	.byte	1                               ; Abbreviation Code
	.byte	17                              ; DW_TAG_compile_unit
	.byte	0                               ; DW_CHILDREN_no
	.byte	37                              ; DW_AT_producer
	.byte	14                              ; DW_FORM_strp
	.byte	19                              ; DW_AT_language
	.byte	5                               ; DW_FORM_data2
	.byte	3                               ; DW_AT_name
	.byte	14                              ; DW_FORM_strp
	.byte	16                              ; DW_AT_stmt_list
	.byte	23                              ; DW_FORM_sec_offset
	.byte	27                              ; DW_AT_comp_dir
	.byte	14                              ; DW_FORM_strp
	.byte	17                              ; DW_AT_low_pc
	.byte	1                               ; DW_FORM_addr
	.byte	18                              ; DW_AT_high_pc
	.byte	6                               ; DW_FORM_data4
	.byte	0                               ; EOM(1)
	.byte	0                               ; EOM(2)
	.byte	0                               ; EOM(3)
	.section	.debug_info,"",@progbits
.Lcu_begin0:
	.long	.Ldebug_info_end0-.Ldebug_info_start0 ; Length of Unit
.Ldebug_info_start0:
	.short	4                               ; DWARF version number
	.long	.debug_abbrev                   ; Offset Into Abbrev. Section
	.byte	8                               ; Address Size (in bytes)
	.byte	1                               ; Abbrev [1] 0xb:0x1f DW_TAG_compile_unit
	.long	.Linfo_string0                  ; DW_AT_producer
	.short	2                               ; DW_AT_language
	.long	.Linfo_string1                  ; DW_AT_name
	.long	.Lline_table_start0             ; DW_AT_stmt_list
	.long	.Linfo_string2                  ; DW_AT_comp_dir
	.quad	.Lfunc_begin0                   ; DW_AT_low_pc
	.long	.Lfunc_end0-.Lfunc_begin0       ; DW_AT_high_pc
.Ldebug_info_end0:
	.section	.debug_str,"MS",@progbits,1
.Linfo_string0:
	.asciz	"triton"                        ; string offset=0
.Linfo_string1:
	.asciz	"index_select_aot.py"           ; string offset=7
.Linfo_string2:
	.asciz	"/root/src/amdgpu-assembly/repos/FlagOpen__FlagGems/triton_aot_kernels" ; string offset=27
	.section	".note.GNU-stack","",@progbits
	.amdgpu_metadata
---
amdhsa.kernels:
  - .agpr_count:     0
    .args:
      - .address_space:  global
        .offset:         0
        .size:           8
        .value_kind:     global_buffer
      - .address_space:  global
        .offset:         8
        .size:           8
        .value_kind:     global_buffer
      - .offset:         16
        .size:           4
        .value_kind:     by_value
      - .offset:         20
        .size:           4
        .value_kind:     by_value
      - .address_space:  global
        .offset:         24
        .size:           8
        .value_kind:     global_buffer
      - .offset:         32
        .size:           4
        .value_kind:     by_value
      - .address_space:  global
        .offset:         40
        .size:           8
        .value_kind:     global_buffer
      - .address_space:  global
        .offset:         48
        .size:           8
        .value_kind:     global_buffer
    .group_segment_fixed_size: 0
    .kernarg_segment_align: 8
    .kernarg_segment_size: 56
    .max_flat_workgroup_size: 256
    .name:           index_select_kernel
    .private_segment_fixed_size: 0
    .sgpr_count:     34
    .sgpr_spill_count: 0
    .symbol:         index_select_kernel.kd
    .uniform_work_group_size: 1
    .uses_dynamic_stack: false
    .vgpr_count:     14
    .vgpr_spill_count: 0
    .wavefront_size: 64
amdhsa.target:   amdgcn-amd-amdhsa--gfx950
amdhsa.version:
  - 1
  - 2
...

	.end_amdgpu_metadata
	.section	.debug_line,"",@progbits
.Lline_table_start0:
